;; amdgpu-corpus repo=amd/amd-lab-notes kind=compiled arch=gfx90a opt=O3
	.text
	.amdgcn_target "amdgcn-amd-amdhsa--gfx90a"
	.amdhsa_code_object_version 6
	.protected	_Z20sgemm_16x16x16_batchPKDF16_S0_Pf ; -- Begin function _Z20sgemm_16x16x16_batchPKDF16_S0_Pf
	.globl	_Z20sgemm_16x16x16_batchPKDF16_S0_Pf
	.p2align	8
	.type	_Z20sgemm_16x16x16_batchPKDF16_S0_Pf,@function
_Z20sgemm_16x16x16_batchPKDF16_S0_Pf:   ; @_Z20sgemm_16x16x16_batchPKDF16_S0_Pf
; %bb.0:
	s_load_dwordx4 s[0:3], s[4:5], 0x0
	s_load_dwordx2 s[6:7], s[4:5], 0x10
	v_and_b32_e32 v1, 0x3ff, v0
	v_bfe_u32 v24, v0, 10, 10
	v_lshlrev_b32_e32 v2, 4, v1
	v_lshlrev_b32_e32 v0, 8, v24
	v_add_u32_e32 v25, v0, v1
	v_add_lshl_u32 v0, v0, v2, 1
	v_lshlrev_b32_e32 v26, 1, v25
	s_waitcnt lgkmcnt(0)
	global_load_dwordx4 v[14:17], v0, s[0:1]
	global_load_ushort v1, v26, s[2:3] offset:64
	global_load_ushort v2, v26, s[2:3] offset:96
	global_load_ushort v3, v26, s[2:3]
	global_load_ushort v4, v26, s[2:3] offset:32
	global_load_ushort v22, v26, s[2:3] offset:192
	;; [unrolled: 1-line block ×5, first 2 shown]
	global_load_dwordx4 v[18:21], v0, s[0:1] offset:16
	global_load_ushort v29, v26, s[2:3] offset:320
	global_load_ushort v30, v26, s[2:3] offset:352
	global_load_ushort v31, v26, s[2:3] offset:256
	global_load_ushort v32, v26, s[2:3] offset:288
	global_load_ushort v33, v26, s[2:3] offset:448
	global_load_ushort v34, v26, s[2:3] offset:480
	s_mov_b32 s4, 0x5040100
	s_movk_i32 s0, 0xff40
	s_waitcnt vmcnt(13)
	v_perm_b32 v1, v2, v1, s4
	s_waitcnt vmcnt(11)
	v_perm_b32 v0, v4, v3, s4
	;; [unrolled: 2-line block ×3, first 2 shown]
	v_mfma_f32_16x16x4f16 v[0:15], v[14:15], v[0:1], 0
	s_waitcnt vmcnt(7)
	v_perm_b32 v22, v28, v27, s4
	global_load_ushort v27, v26, s[2:3] offset:384
	global_load_ushort v28, v26, s[2:3] offset:416
	v_mfma_f32_16x16x4f16 v[0:15], v[16:17], v[22:23], v[0:15]
	s_waitcnt vmcnt(6)
	v_perm_b32 v23, v30, v29, s4
	s_waitcnt vmcnt(4)
	v_perm_b32 v22, v32, v31, s4
	v_mov_b32_e32 v17, 0
	v_mad_i32_i24 v16, v24, s0, v25
	v_lshlrev_b64 v[16:17], 2, v[16:17]
	v_add_co_u32_e32 v16, vcc, s6, v16
	v_mfma_f32_16x16x4f16 v[0:15], v[18:19], v[22:23], v[0:15]
	v_mov_b32_e32 v18, s7
	v_addc_co_u32_e32 v17, vcc, v18, v17, vcc
	s_waitcnt vmcnt(2)
	v_perm_b32 v19, v34, v33, s4
	s_waitcnt vmcnt(0)
	v_perm_b32 v18, v28, v27, s4
	s_nop 1
	v_mfma_f32_16x16x4f16 v[0:15], v[20:21], v[18:19], v[0:15]
	s_nop 7
	s_nop 2
	global_store_dword v[16:17], v0, off
	global_store_dword v[16:17], v1, off offset:64
	global_store_dword v[16:17], v2, off offset:128
	global_store_dword v[16:17], v3, off offset:192
	global_store_dword v[16:17], v4, off offset:1024
	global_store_dword v[16:17], v5, off offset:1088
	global_store_dword v[16:17], v6, off offset:1152
	global_store_dword v[16:17], v7, off offset:1216
	global_store_dword v[16:17], v8, off offset:2048
	global_store_dword v[16:17], v9, off offset:2112
	global_store_dword v[16:17], v10, off offset:2176
	global_store_dword v[16:17], v11, off offset:2240
	global_store_dword v[16:17], v12, off offset:3072
	global_store_dword v[16:17], v13, off offset:3136
	global_store_dword v[16:17], v14, off offset:3200
	global_store_dword v[16:17], v15, off offset:3264
	s_endpgm
	.section	.rodata,"a",@progbits
	.p2align	6, 0x0
	.amdhsa_kernel _Z20sgemm_16x16x16_batchPKDF16_S0_Pf
		.amdhsa_group_segment_fixed_size 0
		.amdhsa_private_segment_fixed_size 0
		.amdhsa_kernarg_size 24
		.amdhsa_user_sgpr_count 6
		.amdhsa_user_sgpr_private_segment_buffer 1
		.amdhsa_user_sgpr_dispatch_ptr 0
		.amdhsa_user_sgpr_queue_ptr 0
		.amdhsa_user_sgpr_kernarg_segment_ptr 1
		.amdhsa_user_sgpr_dispatch_id 0
		.amdhsa_user_sgpr_flat_scratch_init 0
		.amdhsa_user_sgpr_kernarg_preload_length 0
		.amdhsa_user_sgpr_kernarg_preload_offset 0
		.amdhsa_user_sgpr_private_segment_size 0
		.amdhsa_uses_dynamic_stack 0
		.amdhsa_system_sgpr_private_segment_wavefront_offset 0
		.amdhsa_system_sgpr_workgroup_id_x 1
		.amdhsa_system_sgpr_workgroup_id_y 0
		.amdhsa_system_sgpr_workgroup_id_z 0
		.amdhsa_system_sgpr_workgroup_info 0
		.amdhsa_system_vgpr_workitem_id 1
		.amdhsa_next_free_vgpr 35
		.amdhsa_next_free_sgpr 8
		.amdhsa_accum_offset 36
		.amdhsa_reserve_vcc 1
		.amdhsa_reserve_flat_scratch 0
		.amdhsa_float_round_mode_32 0
		.amdhsa_float_round_mode_16_64 0
		.amdhsa_float_denorm_mode_32 3
		.amdhsa_float_denorm_mode_16_64 3
		.amdhsa_dx10_clamp 1
		.amdhsa_ieee_mode 1
		.amdhsa_fp16_overflow 0
		.amdhsa_tg_split 0
		.amdhsa_exception_fp_ieee_invalid_op 0
		.amdhsa_exception_fp_denorm_src 0
		.amdhsa_exception_fp_ieee_div_zero 0
		.amdhsa_exception_fp_ieee_overflow 0
		.amdhsa_exception_fp_ieee_underflow 0
		.amdhsa_exception_fp_ieee_inexact 0
		.amdhsa_exception_int_div_zero 0
	.end_amdhsa_kernel
	.text
.Lfunc_end0:
	.size	_Z20sgemm_16x16x16_batchPKDF16_S0_Pf, .Lfunc_end0-_Z20sgemm_16x16x16_batchPKDF16_S0_Pf
                                        ; -- End function
	.section	.AMDGPU.csdata,"",@progbits
; Kernel info:
; codeLenInByte = 520
; NumSgprs: 12
; NumVgprs: 35
; NumAgprs: 0
; TotalNumVgprs: 35
; ScratchSize: 0
; MemoryBound: 0
; FloatMode: 240
; IeeeMode: 1
; LDSByteSize: 0 bytes/workgroup (compile time only)
; SGPRBlocks: 1
; VGPRBlocks: 4
; NumSGPRsForWavesPerEU: 12
; NumVGPRsForWavesPerEU: 35
; AccumOffset: 36
; Occupancy: 8
; WaveLimiterHint : 1
; COMPUTE_PGM_RSRC2:SCRATCH_EN: 0
; COMPUTE_PGM_RSRC2:USER_SGPR: 6
; COMPUTE_PGM_RSRC2:TRAP_HANDLER: 0
; COMPUTE_PGM_RSRC2:TGID_X_EN: 1
; COMPUTE_PGM_RSRC2:TGID_Y_EN: 0
; COMPUTE_PGM_RSRC2:TGID_Z_EN: 0
; COMPUTE_PGM_RSRC2:TIDIG_COMP_CNT: 1
; COMPUTE_PGM_RSRC3_GFX90A:ACCUM_OFFSET: 8
; COMPUTE_PGM_RSRC3_GFX90A:TG_SPLIT: 0
	.text
	.p2alignl 6, 3212836864
	.fill 256, 4, 3212836864
	.type	__hip_cuid_9e76b83dc76873e,@object ; @__hip_cuid_9e76b83dc76873e
	.section	.bss,"aw",@nobits
	.globl	__hip_cuid_9e76b83dc76873e
__hip_cuid_9e76b83dc76873e:
	.byte	0                               ; 0x0
	.size	__hip_cuid_9e76b83dc76873e, 1

	.ident	"AMD clang version 19.0.0git (https://github.com/RadeonOpenCompute/llvm-project roc-6.4.0 25133 c7fe45cf4b819c5991fe208aaa96edf142730f1d)"
	.section	".note.GNU-stack","",@progbits
	.addrsig
	.addrsig_sym __hip_cuid_9e76b83dc76873e
	.amdgpu_metadata
---
amdhsa.kernels:
  - .agpr_count:     0
    .args:
      - .address_space:  global
        .offset:         0
        .size:           8
        .value_kind:     global_buffer
      - .address_space:  global
        .offset:         8
        .size:           8
        .value_kind:     global_buffer
      - .address_space:  global
        .offset:         16
        .size:           8
        .value_kind:     global_buffer
    .group_segment_fixed_size: 0
    .kernarg_segment_align: 8
    .kernarg_segment_size: 24
    .language:       OpenCL C
    .language_version:
      - 2
      - 0
    .max_flat_workgroup_size: 1024
    .name:           _Z20sgemm_16x16x16_batchPKDF16_S0_Pf
    .private_segment_fixed_size: 0
    .sgpr_count:     12
    .sgpr_spill_count: 0
    .symbol:         _Z20sgemm_16x16x16_batchPKDF16_S0_Pf.kd
    .uniform_work_group_size: 1
    .uses_dynamic_stack: false
    .vgpr_count:     35
    .vgpr_spill_count: 0
    .wavefront_size: 64
amdhsa.target:   amdgcn-amd-amdhsa--gfx90a
amdhsa.version:
  - 1
  - 2
...

	.end_amdgpu_metadata
